;; amdgpu-corpus repo=zjin-lcf/HeCBench kind=compiled arch=gfx906 opt=O3
	.amdgcn_target "amdgcn-amd-amdhsa--gfx906"
	.amdhsa_code_object_version 6
	.text
	.protected	_Z7kernel1PiPKiiiiii    ; -- Begin function _Z7kernel1PiPKiiiiii
	.globl	_Z7kernel1PiPKiiiiii
	.p2align	8
	.type	_Z7kernel1PiPKiiiiii,@function
_Z7kernel1PiPKiiiiii:                   ; @_Z7kernel1PiPKiiiiii
; %bb.0:
	s_load_dwordx8 s[36:43], s[4:5], 0x0
	s_load_dword s33, s[4:5], 0x20
	s_not_b32 s0, s6
	s_lshl_b32 s1, s6, 4
	v_cmp_eq_u32_e32 vcc, 0, v0
	s_waitcnt lgkmcnt(0)
	s_add_i32 s0, s43, s0
	s_lshl_b32 s0, s0, 4
	s_add_i32 s0, s0, s40
	s_mul_i32 s0, s0, s42
	s_add_i32 s4, s41, s1
	s_add_i32 s4, s4, s0
	v_add_u32_e32 v1, s4, v0
	v_ashrrev_i32_e32 v2, 31, v1
	v_lshlrev_b64 v[3:4], 2, v[1:2]
	s_and_saveexec_b64 s[2:3], vcc
	s_cbranch_execz .LBB0_2
; %bb.1:
	v_mov_b32_e32 v6, s37
	v_add_co_u32_e64 v5, s[0:1], s36, v3
	v_addc_co_u32_e64 v6, s[0:1], v6, v4, s[0:1]
	global_load_dword v5, v[5:6], off
	v_mov_b32_e32 v6, 0
	s_waitcnt vmcnt(0)
	ds_write_b32 v6, v5
.LBB0_2:
	s_or_b64 exec, exec, s[2:3]
	s_ashr_i32 s43, s42, 31
	v_add_co_u32_e64 v1, s[0:1], s42, v1
	v_mov_b32_e32 v5, s43
	v_addc_co_u32_e64 v2, s[0:1], v5, v2, s[0:1]
	v_lshlrev_b64 v[5:6], 2, v[1:2]
	v_mov_b32_e32 v8, s39
	v_add_co_u32_e64 v5, s[0:1], s38, v5
	v_addc_co_u32_e64 v6, s[0:1], v8, v6, s[0:1]
	s_lshl_b64 s[30:31], s[42:43], 2
	v_add_co_u32_e64 v8, s[0:1], s30, v5
	v_mov_b32_e32 v9, s31
	v_addc_co_u32_e64 v9, s[0:1], v6, v9, s[0:1]
	global_load_dword v10, v[5:6], off offset:4
	s_lshl_b32 s34, s42, 1
	global_load_dword v9, v[8:9], off offset:4
	v_lshlrev_b32_e32 v11, 2, v0
	s_ashr_i32 s35, s34, 31
	v_add_u32_e32 v8, 0x400, v11
	s_lshl_b64 s[2:3], s[34:35], 2
	s_mul_i32 s38, s42, 3
	s_ashr_i32 s39, s38, 31
	s_lshl_b32 s40, s42, 2
	s_ashr_i32 s41, s40, 31
	s_mul_i32 s44, s42, 5
	s_ashr_i32 s45, s44, 31
	s_mul_i32 s46, s42, 6
	;; [unrolled: 2-line block ×3, first 2 shown]
	s_ashr_i32 s53, s52, 31
	s_lshl_b32 s56, s42, 3
	s_ashr_i32 s57, s56, 31
	s_mul_i32 s60, s42, 9
	s_ashr_i32 s61, s60, 31
	s_mul_i32 s64, s42, 10
	;; [unrolled: 2-line block ×7, first 2 shown]
	s_ashr_i32 s63, s62, 31
	v_add_u32_e32 v7, 0x490, v11
	s_waitcnt vmcnt(0)
	ds_write2_b32 v8, v10, v9 offset0:36 offset1:52
	v_add_co_u32_e64 v9, s[0:1], s2, v5
	v_mov_b32_e32 v10, s3
	v_addc_co_u32_e64 v10, s[0:1], v6, v10, s[0:1]
	s_lshl_b64 s[2:3], s[38:39], 2
	global_load_dword v12, v[9:10], off offset:4
	v_add_co_u32_e64 v9, s[0:1], s2, v5
	v_mov_b32_e32 v10, s3
	v_addc_co_u32_e64 v10, s[0:1], v6, v10, s[0:1]
	global_load_dword v9, v[9:10], off offset:4
	s_lshl_b64 s[2:3], s[40:41], 2
	v_mov_b32_e32 v10, s3
	s_waitcnt vmcnt(0)
	ds_write2_b32 v8, v12, v9 offset0:68 offset1:84
	v_add_co_u32_e64 v9, s[0:1], s2, v5
	v_addc_co_u32_e64 v10, s[0:1], v6, v10, s[0:1]
	s_lshl_b64 s[2:3], s[44:45], 2
	global_load_dword v12, v[9:10], off offset:4
	v_add_co_u32_e64 v9, s[0:1], s2, v5
	v_mov_b32_e32 v10, s3
	v_addc_co_u32_e64 v10, s[0:1], v6, v10, s[0:1]
	global_load_dword v9, v[9:10], off offset:4
	s_lshl_b64 s[2:3], s[46:47], 2
	v_mov_b32_e32 v10, s3
	s_waitcnt vmcnt(0)
	ds_write2_b32 v8, v12, v9 offset0:100 offset1:116
	v_add_co_u32_e64 v9, s[0:1], s2, v5
	;; [unrolled: 12-line block ×5, first 2 shown]
	v_addc_co_u32_e64 v10, s[0:1], v6, v10, s[0:1]
	s_lshl_b64 s[2:3], s[54:55], 2
	global_load_dword v12, v[9:10], off offset:4
	v_add_co_u32_e64 v9, s[0:1], s2, v5
	v_mov_b32_e32 v10, s3
	v_addc_co_u32_e64 v10, s[0:1], v6, v10, s[0:1]
	global_load_dword v9, v[9:10], off offset:4
	s_lshl_b64 s[2:3], s[58:59], 2
	s_waitcnt vmcnt(0)
	ds_write2_b32 v8, v12, v9 offset0:228 offset1:244
	v_add_co_u32_e64 v8, s[0:1], s2, v5
	v_mov_b32_e32 v9, s3
	v_addc_co_u32_e64 v9, s[0:1], v6, v9, s[0:1]
	s_lshl_b64 s[2:3], s[62:63], 2
	global_load_dword v8, v[8:9], off offset:4
	v_add_co_u32_e64 v5, s[0:1], s2, v5
	v_mov_b32_e32 v9, s3
	v_addc_co_u32_e64 v6, s[0:1], v6, v9, s[0:1]
	global_load_dword v5, v[5:6], off offset:4
	v_add_u32_e32 v6, 0x800, v11
	v_mov_b32_e32 v9, s37
	s_waitcnt vmcnt(0)
	ds_write2_b32 v6, v8, v5 offset0:4 offset1:20
	v_add_u32_e32 v8, 1, v0
	v_mul_lo_u32 v5, s42, v8
	v_add_u32_e32 v5, s4, v5
	v_ashrrev_i32_e32 v6, 31, v5
	v_lshlrev_b64 v[5:6], 2, v[5:6]
	v_add_co_u32_e64 v5, s[0:1], s36, v5
	v_addc_co_u32_e64 v6, s[0:1], v9, v6, s[0:1]
	global_load_dword v5, v[5:6], off
	v_mul_u32_u24_e32 v6, 0x44, v8
	v_add_co_u32_e64 v3, s[0:1], s36, v3
	s_waitcnt vmcnt(0)
	ds_write_b32 v6, v5
	v_mov_b32_e32 v5, s37
	v_addc_co_u32_e64 v4, s[0:1], v5, v4, s[0:1]
	global_load_dword v5, v[3:4], off offset:4
	s_waitcnt vmcnt(0)
	ds_write_b32 v11, v5 offset:4
	s_waitcnt lgkmcnt(0)
	s_barrier
	s_and_saveexec_b64 s[0:1], vcc
	s_cbranch_execz .LBB0_4
; %bb.3:
	ds_read2_b32 v[5:6], v11 offset1:1
	ds_read_b32 v8, v11 offset:68
	ds_read_b32 v9, v7
	s_waitcnt lgkmcnt(2)
	v_subrev_u32_e32 v6, s33, v6
	s_waitcnt lgkmcnt(1)
	v_subrev_u32_e32 v8, s33, v8
	s_waitcnt lgkmcnt(0)
	v_add_u32_e32 v5, v9, v5
	v_max3_i32 v5, v5, v8, v6
	ds_write_b32 v11, v5 offset:72
.LBB0_4:
	s_or_b64 exec, exec, s[0:1]
	v_cmp_gt_u32_e64 s[0:1], 2, v0
	s_waitcnt lgkmcnt(0)
	s_barrier
	s_and_saveexec_b64 s[2:3], s[0:1]
	s_cbranch_execz .LBB0_6
; %bb.5:
	v_sub_u32_e32 v5, 1, v0
	v_mul_u32_u24_e32 v6, 17, v5
	v_lshl_add_u32 v8, v6, 2, v11
	v_lshl_add_u32 v9, v5, 6, v7
	ds_read2_b32 v[5:6], v8 offset1:1
	ds_read_b32 v9, v9
	ds_read_b32 v10, v8 offset:68
	s_waitcnt lgkmcnt(2)
	v_subrev_u32_e32 v6, s33, v6
	s_waitcnt lgkmcnt(1)
	v_add_u32_e32 v5, v9, v5
	s_waitcnt lgkmcnt(0)
	v_subrev_u32_e32 v9, s33, v10
	v_max3_i32 v5, v5, v9, v6
	ds_write_b32 v8, v5 offset:72
.LBB0_6:
	s_or_b64 exec, exec, s[2:3]
	v_cmp_gt_u32_e64 s[2:3], 3, v0
	s_waitcnt lgkmcnt(0)
	s_barrier
	s_and_saveexec_b64 s[4:5], s[2:3]
	s_cbranch_execz .LBB0_8
; %bb.7:
	v_sub_u32_e32 v5, 2, v0
	v_mul_u32_u24_e32 v6, 17, v5
	v_lshl_add_u32 v8, v6, 2, v11
	v_lshl_add_u32 v9, v5, 6, v7
	ds_read2_b32 v[5:6], v8 offset1:1
	ds_read_b32 v9, v9
	ds_read_b32 v10, v8 offset:68
	s_waitcnt lgkmcnt(2)
	v_subrev_u32_e32 v6, s33, v6
	s_waitcnt lgkmcnt(1)
	v_add_u32_e32 v5, v9, v5
	s_waitcnt lgkmcnt(0)
	v_subrev_u32_e32 v9, s33, v10
	v_max3_i32 v5, v5, v9, v6
	ds_write_b32 v8, v5 offset:72
.LBB0_8:
	;; [unrolled: 23-line block ×14, first 2 shown]
	s_or_b64 exec, exec, s[28:29]
	v_sub_co_u32_e64 v8, s[28:29], 15, v0
	s_xor_b64 s[28:29], s[28:29], -1
	v_mul_i32_i24_e32 v5, 17, v8
	v_lshlrev_b32_e32 v6, 6, v8
	s_waitcnt lgkmcnt(0)
	s_barrier
	s_and_saveexec_b64 s[42:43], s[28:29]
	s_xor_b64 s[28:29], exec, s[42:43]
	s_cbranch_execz .LBB0_34
; %bb.33:
	v_lshlrev_b32_e32 v6, 6, v8
	v_lshl_add_u32 v9, v5, 2, v11
	v_add_u32_e32 v10, v7, v6
	ds_read2_b32 v[7:8], v9 offset1:1
	ds_read_b32 v10, v10
	ds_read_b32 v12, v9 offset:68
	s_waitcnt lgkmcnt(2)
	v_subrev_u32_e32 v8, s33, v8
	s_waitcnt lgkmcnt(1)
	v_add_u32_e32 v7, v10, v7
	s_waitcnt lgkmcnt(0)
	v_subrev_u32_e32 v10, s33, v12
	v_max3_i32 v7, v7, v10, v8
	ds_write_b32 v9, v7 offset:72
.LBB0_34:
	s_andn2_saveexec_b64 s[28:29], s[28:29]
	s_or_b64 exec, exec, s[28:29]
	v_sub_u32_e32 v0, 16, v0
	v_lshlrev_b32_e32 v5, 2, v5
	v_add_u32_e32 v6, 0x490, v6
	v_mul_i32_i24_e32 v0, 0x44, v0
	s_waitcnt lgkmcnt(0)
	s_barrier
	s_and_saveexec_b64 s[28:29], s[26:27]
	s_cbranch_execz .LBB0_36
; %bb.35:
	v_add_u32_e32 v7, v5, v11
	v_add_u32_e32 v9, v6, v11
	v_add_u32_e32 v10, v0, v11
	ds_read2_b32 v[7:8], v7 offset0:1 offset1:2
	ds_read_b32 v9, v9 offset:4
	ds_read_b32 v12, v10 offset:4
	s_waitcnt lgkmcnt(2)
	v_subrev_u32_e32 v8, s33, v8
	s_waitcnt lgkmcnt(1)
	v_add_u32_e32 v7, v9, v7
	s_waitcnt lgkmcnt(0)
	v_subrev_u32_e32 v9, s33, v12
	v_max3_i32 v7, v7, v9, v8
	ds_write_b32 v10, v7 offset:8
.LBB0_36:
	s_or_b64 exec, exec, s[28:29]
	s_waitcnt lgkmcnt(0)
	s_barrier
	s_and_saveexec_b64 s[26:27], s[24:25]
	s_cbranch_execz .LBB0_38
; %bb.37:
	v_add_u32_e32 v7, v5, v11
	v_add_u32_e32 v9, v6, v11
	v_add_u32_e32 v10, v0, v11
	ds_read2_b32 v[7:8], v7 offset0:2 offset1:3
	ds_read_b32 v9, v9 offset:8
	ds_read_b32 v12, v10 offset:8
	s_waitcnt lgkmcnt(2)
	v_subrev_u32_e32 v8, s33, v8
	s_waitcnt lgkmcnt(1)
	v_add_u32_e32 v7, v9, v7
	s_waitcnt lgkmcnt(0)
	v_subrev_u32_e32 v9, s33, v12
	v_max3_i32 v7, v7, v9, v8
	ds_write_b32 v10, v7 offset:12
.LBB0_38:
	s_or_b64 exec, exec, s[26:27]
	;; [unrolled: 21-line block ×14, first 2 shown]
	s_waitcnt lgkmcnt(0)
	s_barrier
	s_and_saveexec_b64 s[0:1], vcc
	s_cbranch_execz .LBB0_64
; %bb.63:
	ds_read2_b32 v[7:8], v5 offset0:15 offset1:16
	ds_read_b32 v5, v6 offset:60
	ds_read_b32 v6, v0 offset:60
	s_waitcnt lgkmcnt(1)
	v_add_u32_e32 v5, v5, v7
	s_waitcnt lgkmcnt(0)
	v_subrev_u32_e32 v6, s33, v6
	v_subrev_u32_e32 v7, s33, v8
	v_max3_i32 v5, v5, v6, v7
	ds_write_b32 v0, v5 offset:64
.LBB0_64:
	s_or_b64 exec, exec, s[0:1]
	v_mov_b32_e32 v0, s35
	v_add_co_u32_e32 v12, vcc, s34, v1
	v_addc_co_u32_e32 v13, vcc, v0, v2, vcc
	v_mov_b32_e32 v0, s39
	v_add_co_u32_e32 v14, vcc, s38, v1
	v_addc_co_u32_e32 v15, vcc, v0, v2, vcc
	;; [unrolled: 3-line block ×9, first 2 shown]
	s_waitcnt lgkmcnt(0)
	s_barrier
	ds_read2_b32 v[24:25], v11 offset0:18 offset1:35
	v_mov_b32_e32 v0, s31
	v_add_co_u32_e32 v3, vcc, s30, v3
	v_addc_co_u32_e32 v4, vcc, v4, v0, vcc
	v_add_co_u32_e32 v26, vcc, s30, v3
	v_addc_co_u32_e32 v27, vcc, v4, v0, vcc
	v_mov_b32_e32 v0, s51
	s_waitcnt lgkmcnt(0)
	global_store_dword v[3:4], v24, off offset:4
	v_add_co_u32_e32 v3, vcc, s50, v1
	v_lshlrev_b64 v[12:13], 2, v[12:13]
	v_addc_co_u32_e32 v4, vcc, v0, v2, vcc
	v_mov_b32_e32 v24, s37
	v_add_co_u32_e32 v12, vcc, s36, v12
	v_lshlrev_b64 v[14:15], 2, v[14:15]
	v_addc_co_u32_e32 v13, vcc, v24, v13, vcc
	v_add_co_u32_e32 v14, vcc, s36, v14
	global_store_dword v[26:27], v25, off offset:4
	v_addc_co_u32_e32 v15, vcc, v24, v15, vcc
	ds_read2_b32 v[24:25], v11 offset0:52 offset1:69
	v_mov_b32_e32 v0, s49
	v_add_co_u32_e32 v26, vcc, s48, v1
	v_addc_co_u32_e32 v27, vcc, v0, v2, vcc
	v_mov_b32_e32 v0, s55
	s_waitcnt lgkmcnt(0)
	global_store_dword v[12:13], v24, off offset:4
	v_add_co_u32_e32 v12, vcc, s54, v1
	v_addc_co_u32_e32 v13, vcc, v0, v2, vcc
	v_mov_b32_e32 v0, s59
	global_store_dword v[14:15], v25, off offset:4
	v_add_co_u32_e32 v14, vcc, s58, v1
	v_addc_co_u32_e32 v15, vcc, v0, v2, vcc
	v_mov_b32_e32 v24, s63
	v_add_co_u32_e32 v0, vcc, s62, v1
	v_addc_co_u32_e32 v1, vcc, v24, v2, vcc
	ds_read2_b32 v[24:25], v11 offset0:86 offset1:103
	v_lshlrev_b64 v[16:17], 2, v[16:17]
	v_mov_b32_e32 v2, s37
	v_add_co_u32_e32 v16, vcc, s36, v16
	v_addc_co_u32_e32 v17, vcc, v2, v17, vcc
	s_waitcnt lgkmcnt(0)
	global_store_dword v[16:17], v24, off offset:4
	v_lshlrev_b64 v[16:17], 2, v[18:19]
	v_lshlrev_b64 v[18:19], 2, v[20:21]
	v_add_co_u32_e32 v16, vcc, s36, v16
	v_addc_co_u32_e32 v17, vcc, v2, v17, vcc
	global_store_dword v[16:17], v25, off offset:4
	ds_read2_b32 v[16:17], v11 offset0:120 offset1:137
	v_add_co_u32_e32 v18, vcc, s36, v18
	v_addc_co_u32_e32 v19, vcc, v2, v19, vcc
	s_waitcnt lgkmcnt(0)
	global_store_dword v[18:19], v16, off offset:4
	v_lshlrev_b64 v[18:19], 2, v[22:23]
	v_lshlrev_b64 v[9:10], 2, v[9:10]
	v_add_co_u32_e32 v18, vcc, s36, v18
	v_addc_co_u32_e32 v19, vcc, v2, v19, vcc
	global_store_dword v[18:19], v17, off offset:4
	ds_read2_b32 v[16:17], v11 offset0:154 offset1:171
	v_add_co_u32_e32 v9, vcc, s36, v9
	v_lshlrev_b64 v[7:8], 2, v[7:8]
	v_addc_co_u32_e32 v10, vcc, v2, v10, vcc
	v_add_co_u32_e32 v7, vcc, s36, v7
	v_lshlrev_b64 v[5:6], 2, v[5:6]
	v_addc_co_u32_e32 v8, vcc, v2, v8, vcc
	s_waitcnt lgkmcnt(0)
	global_store_dword v[9:10], v16, off offset:4
	global_store_dword v[7:8], v17, off offset:4
	ds_read2_b32 v[7:8], v11 offset0:188 offset1:205
	v_add_co_u32_e32 v5, vcc, s36, v5
	v_addc_co_u32_e32 v6, vcc, v2, v6, vcc
	v_lshlrev_b64 v[2:3], 2, v[3:4]
	v_mov_b32_e32 v4, s37
	v_add_co_u32_e32 v2, vcc, s36, v2
	v_addc_co_u32_e32 v3, vcc, v4, v3, vcc
	s_waitcnt lgkmcnt(0)
	global_store_dword v[5:6], v7, off offset:4
	global_store_dword v[2:3], v8, off offset:4
	ds_read2_b32 v[2:3], v11 offset0:222 offset1:239
	v_lshlrev_b64 v[4:5], 2, v[26:27]
	v_mov_b32_e32 v6, s37
	v_add_co_u32_e32 v4, vcc, s36, v4
	v_addc_co_u32_e32 v5, vcc, v6, v5, vcc
	s_waitcnt lgkmcnt(0)
	global_store_dword v[4:5], v2, off offset:4
	v_lshlrev_b64 v[4:5], 2, v[12:13]
	v_mov_b32_e32 v2, s37
	v_add_co_u32_e32 v4, vcc, s36, v4
	v_addc_co_u32_e32 v5, vcc, v2, v5, vcc
	v_add_u32_e32 v2, 0x400, v11
	global_store_dword v[4:5], v3, off offset:4
	ds_read2_b32 v[2:3], v2 offset1:17
	v_lshlrev_b64 v[4:5], 2, v[14:15]
	v_lshlrev_b64 v[0:1], 2, v[0:1]
	v_add_co_u32_e32 v4, vcc, s36, v4
	v_addc_co_u32_e32 v5, vcc, v6, v5, vcc
	s_waitcnt lgkmcnt(0)
	global_store_dword v[4:5], v2, off offset:4
	v_mov_b32_e32 v2, s37
	v_add_co_u32_e32 v0, vcc, s36, v0
	v_addc_co_u32_e32 v1, vcc, v2, v1, vcc
	global_store_dword v[0:1], v3, off offset:4
	s_endpgm
	.section	.rodata,"a",@progbits
	.p2align	6, 0x0
	.amdhsa_kernel _Z7kernel1PiPKiiiiii
		.amdhsa_group_segment_fixed_size 2192
		.amdhsa_private_segment_fixed_size 0
		.amdhsa_kernarg_size 36
		.amdhsa_user_sgpr_count 6
		.amdhsa_user_sgpr_private_segment_buffer 1
		.amdhsa_user_sgpr_dispatch_ptr 0
		.amdhsa_user_sgpr_queue_ptr 0
		.amdhsa_user_sgpr_kernarg_segment_ptr 1
		.amdhsa_user_sgpr_dispatch_id 0
		.amdhsa_user_sgpr_flat_scratch_init 0
		.amdhsa_user_sgpr_private_segment_size 0
		.amdhsa_uses_dynamic_stack 0
		.amdhsa_system_sgpr_private_segment_wavefront_offset 0
		.amdhsa_system_sgpr_workgroup_id_x 1
		.amdhsa_system_sgpr_workgroup_id_y 0
		.amdhsa_system_sgpr_workgroup_id_z 0
		.amdhsa_system_sgpr_workgroup_info 0
		.amdhsa_system_vgpr_workitem_id 0
		.amdhsa_next_free_vgpr 29
		.amdhsa_next_free_sgpr 66
		.amdhsa_reserve_vcc 1
		.amdhsa_reserve_flat_scratch 0
		.amdhsa_float_round_mode_32 0
		.amdhsa_float_round_mode_16_64 0
		.amdhsa_float_denorm_mode_32 3
		.amdhsa_float_denorm_mode_16_64 3
		.amdhsa_dx10_clamp 1
		.amdhsa_ieee_mode 1
		.amdhsa_fp16_overflow 0
		.amdhsa_exception_fp_ieee_invalid_op 0
		.amdhsa_exception_fp_denorm_src 0
		.amdhsa_exception_fp_ieee_div_zero 0
		.amdhsa_exception_fp_ieee_overflow 0
		.amdhsa_exception_fp_ieee_underflow 0
		.amdhsa_exception_fp_ieee_inexact 0
		.amdhsa_exception_int_div_zero 0
	.end_amdhsa_kernel
	.text
.Lfunc_end0:
	.size	_Z7kernel1PiPKiiiiii, .Lfunc_end0-_Z7kernel1PiPKiiiiii
                                        ; -- End function
	.set _Z7kernel1PiPKiiiiii.num_vgpr, 28
	.set _Z7kernel1PiPKiiiiii.num_agpr, 0
	.set _Z7kernel1PiPKiiiiii.numbered_sgpr, 66
	.set _Z7kernel1PiPKiiiiii.num_named_barrier, 0
	.set _Z7kernel1PiPKiiiiii.private_seg_size, 0
	.set _Z7kernel1PiPKiiiiii.uses_vcc, 1
	.set _Z7kernel1PiPKiiiiii.uses_flat_scratch, 0
	.set _Z7kernel1PiPKiiiiii.has_dyn_sized_stack, 0
	.set _Z7kernel1PiPKiiiiii.has_recursion, 0
	.set _Z7kernel1PiPKiiiiii.has_indirect_call, 0
	.section	.AMDGPU.csdata,"",@progbits
; Kernel info:
; codeLenInByte = 4984
; TotalNumSgprs: 70
; NumVgprs: 28
; ScratchSize: 0
; MemoryBound: 0
; FloatMode: 240
; IeeeMode: 1
; LDSByteSize: 2192 bytes/workgroup (compile time only)
; SGPRBlocks: 8
; VGPRBlocks: 7
; NumSGPRsForWavesPerEU: 70
; NumVGPRsForWavesPerEU: 29
; Occupancy: 8
; WaveLimiterHint : 0
; COMPUTE_PGM_RSRC2:SCRATCH_EN: 0
; COMPUTE_PGM_RSRC2:USER_SGPR: 6
; COMPUTE_PGM_RSRC2:TRAP_HANDLER: 0
; COMPUTE_PGM_RSRC2:TGID_X_EN: 1
; COMPUTE_PGM_RSRC2:TGID_Y_EN: 0
; COMPUTE_PGM_RSRC2:TGID_Z_EN: 0
; COMPUTE_PGM_RSRC2:TIDIG_COMP_CNT: 0
	.text
	.protected	_Z7kernel2PiPKiiiiiii   ; -- Begin function _Z7kernel2PiPKiiiiiii
	.globl	_Z7kernel2PiPKiiiiiii
	.p2align	8
	.type	_Z7kernel2PiPKiiiiiii,@function
_Z7kernel2PiPKiiiiiii:                  ; @_Z7kernel2PiPKiiiiiii
; %bb.0:
	s_load_dwordx8 s[36:43], s[4:5], 0x0
	s_load_dwordx2 s[34:35], s[4:5], 0x20
	s_not_b32 s0, s6
	v_cmp_eq_u32_e32 vcc, 0, v0
	s_waitcnt lgkmcnt(0)
	s_add_i32 s1, s40, s6
	s_add_i32 s0, s40, s0
	s_sub_i32 s1, s1, s34
	s_lshl_b32 s0, s0, 4
	s_lshl_b32 s1, s1, 4
	s_add_i32 s0, s0, s41
	s_mul_i32 s0, s0, s43
	s_add_i32 s1, s1, s42
	s_add_i32 s2, s1, s0
	s_and_saveexec_b64 s[0:1], vcc
	s_cbranch_execz .LBB1_2
; %bb.1:
	s_ashr_i32 s3, s2, 31
	s_lshl_b64 s[4:5], s[2:3], 2
	s_add_u32 s4, s36, s4
	s_addc_u32 s5, s37, s5
	s_load_dword s3, s[4:5], 0x0
	v_mov_b32_e32 v1, 0
	s_waitcnt lgkmcnt(0)
	v_mov_b32_e32 v2, s3
	ds_write_b32 v1, v2
.LBB1_2:
	s_or_b64 exec, exec, s[0:1]
	v_add_u32_e32 v3, s2, v0
	s_ashr_i32 s5, s43, 31
	v_ashrrev_i32_e32 v4, 31, v3
	v_add_co_u32_e64 v1, s[0:1], s43, v3
	v_mov_b32_e32 v2, s5
	v_addc_co_u32_e64 v2, s[0:1], v2, v4, s[0:1]
	v_lshlrev_b64 v[5:6], 2, v[1:2]
	s_mov_b32 s4, s43
	v_add_co_u32_e64 v5, s[0:1], s38, v5
	v_mov_b32_e32 v8, s39
	v_addc_co_u32_e64 v6, s[0:1], v8, v6, s[0:1]
	s_lshl_b64 s[30:31], s[4:5], 2
	v_add_co_u32_e64 v8, s[0:1], s30, v5
	v_mov_b32_e32 v9, s31
	v_addc_co_u32_e64 v9, s[0:1], v6, v9, s[0:1]
	global_load_dword v10, v[5:6], off offset:4
	s_lshl_b32 s38, s43, 1
	global_load_dword v9, v[8:9], off offset:4
	v_lshlrev_b32_e32 v11, 2, v0
	s_ashr_i32 s39, s38, 31
	v_add_u32_e32 v8, 0x400, v11
	s_lshl_b64 s[4:5], s[38:39], 2
	s_mul_i32 s40, s43, 3
	s_ashr_i32 s41, s40, 31
	s_lshl_b32 s44, s43, 2
	s_ashr_i32 s45, s44, 31
	s_mul_i32 s46, s43, 5
	s_ashr_i32 s47, s46, 31
	s_mul_i32 s48, s43, 6
	;; [unrolled: 2-line block ×3, first 2 shown]
	s_ashr_i32 s55, s54, 31
	s_lshl_b32 s58, s43, 3
	s_ashr_i32 s59, s58, 31
	s_mul_i32 s62, s43, 9
	s_ashr_i32 s63, s62, 31
	s_mul_i32 s66, s43, 10
	s_ashr_i32 s67, s66, 31
	s_mul_i32 s52, s43, 11
	s_ashr_i32 s53, s52, 31
	s_mul_i32 s50, s43, 12
	s_ashr_i32 s51, s50, 31
	s_mul_i32 s56, s43, 13
	s_ashr_i32 s57, s56, 31
	s_mul_i32 s60, s43, 14
	s_ashr_i32 s61, s60, 31
	s_mul_i32 s64, s43, 15
	s_ashr_i32 s65, s64, 31
	v_lshlrev_b64 v[3:4], 2, v[3:4]
	v_add_u32_e32 v7, 0x490, v11
	s_waitcnt vmcnt(0)
	ds_write2_b32 v8, v10, v9 offset0:36 offset1:52
	v_add_co_u32_e64 v9, s[0:1], s4, v5
	v_mov_b32_e32 v10, s5
	v_addc_co_u32_e64 v10, s[0:1], v6, v10, s[0:1]
	s_lshl_b64 s[4:5], s[40:41], 2
	global_load_dword v12, v[9:10], off offset:4
	v_add_co_u32_e64 v9, s[0:1], s4, v5
	v_mov_b32_e32 v10, s5
	v_addc_co_u32_e64 v10, s[0:1], v6, v10, s[0:1]
	global_load_dword v9, v[9:10], off offset:4
	s_lshl_b64 s[4:5], s[44:45], 2
	v_mov_b32_e32 v10, s5
	s_waitcnt vmcnt(0)
	ds_write2_b32 v8, v12, v9 offset0:68 offset1:84
	v_add_co_u32_e64 v9, s[0:1], s4, v5
	v_addc_co_u32_e64 v10, s[0:1], v6, v10, s[0:1]
	s_lshl_b64 s[4:5], s[46:47], 2
	global_load_dword v12, v[9:10], off offset:4
	v_add_co_u32_e64 v9, s[0:1], s4, v5
	v_mov_b32_e32 v10, s5
	v_addc_co_u32_e64 v10, s[0:1], v6, v10, s[0:1]
	global_load_dword v9, v[9:10], off offset:4
	s_lshl_b64 s[4:5], s[48:49], 2
	v_mov_b32_e32 v10, s5
	s_waitcnt vmcnt(0)
	ds_write2_b32 v8, v12, v9 offset0:100 offset1:116
	v_add_co_u32_e64 v9, s[0:1], s4, v5
	;; [unrolled: 12-line block ×5, first 2 shown]
	v_addc_co_u32_e64 v10, s[0:1], v6, v10, s[0:1]
	s_lshl_b64 s[4:5], s[56:57], 2
	global_load_dword v12, v[9:10], off offset:4
	v_add_co_u32_e64 v9, s[0:1], s4, v5
	v_mov_b32_e32 v10, s5
	v_addc_co_u32_e64 v10, s[0:1], v6, v10, s[0:1]
	global_load_dword v9, v[9:10], off offset:4
	s_lshl_b64 s[4:5], s[60:61], 2
	s_waitcnt vmcnt(0)
	ds_write2_b32 v8, v12, v9 offset0:228 offset1:244
	v_add_co_u32_e64 v8, s[0:1], s4, v5
	v_mov_b32_e32 v9, s5
	v_addc_co_u32_e64 v9, s[0:1], v6, v9, s[0:1]
	s_lshl_b64 s[4:5], s[64:65], 2
	global_load_dword v8, v[8:9], off offset:4
	v_add_co_u32_e64 v5, s[0:1], s4, v5
	v_mov_b32_e32 v9, s5
	v_addc_co_u32_e64 v6, s[0:1], v6, v9, s[0:1]
	global_load_dword v5, v[5:6], off offset:4
	v_add_u32_e32 v6, 0x800, v11
	v_mov_b32_e32 v9, s37
	s_waitcnt vmcnt(0)
	ds_write2_b32 v6, v8, v5 offset0:4 offset1:20
	v_add_u32_e32 v8, 1, v0
	v_mul_lo_u32 v5, s43, v8
	v_add_u32_e32 v5, s2, v5
	v_ashrrev_i32_e32 v6, 31, v5
	v_lshlrev_b64 v[5:6], 2, v[5:6]
	v_add_co_u32_e64 v5, s[0:1], s36, v5
	v_addc_co_u32_e64 v6, s[0:1], v9, v6, s[0:1]
	global_load_dword v5, v[5:6], off
	v_mul_u32_u24_e32 v6, 0x44, v8
	v_add_co_u32_e64 v3, s[0:1], s36, v3
	s_waitcnt vmcnt(0)
	ds_write_b32 v6, v5
	v_mov_b32_e32 v5, s37
	v_addc_co_u32_e64 v4, s[0:1], v5, v4, s[0:1]
	global_load_dword v5, v[3:4], off offset:4
	s_waitcnt vmcnt(0)
	ds_write_b32 v11, v5 offset:4
	s_waitcnt lgkmcnt(0)
	s_barrier
	s_and_saveexec_b64 s[0:1], vcc
	s_cbranch_execz .LBB1_4
; %bb.3:
	ds_read2_b32 v[5:6], v11 offset1:1
	ds_read_b32 v8, v11 offset:68
	ds_read_b32 v9, v7
	s_waitcnt lgkmcnt(2)
	v_subrev_u32_e32 v6, s35, v6
	s_waitcnt lgkmcnt(1)
	v_subrev_u32_e32 v8, s35, v8
	s_waitcnt lgkmcnt(0)
	v_add_u32_e32 v5, v9, v5
	v_max3_i32 v5, v5, v8, v6
	ds_write_b32 v11, v5 offset:72
.LBB1_4:
	s_or_b64 exec, exec, s[0:1]
	v_cmp_gt_u32_e64 s[0:1], 2, v0
	s_waitcnt lgkmcnt(0)
	s_barrier
	s_and_saveexec_b64 s[2:3], s[0:1]
	s_cbranch_execz .LBB1_6
; %bb.5:
	v_sub_u32_e32 v5, 1, v0
	v_mul_u32_u24_e32 v6, 17, v5
	v_lshl_add_u32 v8, v6, 2, v11
	v_lshl_add_u32 v9, v5, 6, v7
	ds_read2_b32 v[5:6], v8 offset1:1
	ds_read_b32 v9, v9
	ds_read_b32 v10, v8 offset:68
	s_waitcnt lgkmcnt(2)
	v_subrev_u32_e32 v6, s35, v6
	s_waitcnt lgkmcnt(1)
	v_add_u32_e32 v5, v9, v5
	s_waitcnt lgkmcnt(0)
	v_subrev_u32_e32 v9, s35, v10
	v_max3_i32 v5, v5, v9, v6
	ds_write_b32 v8, v5 offset:72
.LBB1_6:
	s_or_b64 exec, exec, s[2:3]
	v_cmp_gt_u32_e64 s[2:3], 3, v0
	s_waitcnt lgkmcnt(0)
	s_barrier
	s_and_saveexec_b64 s[4:5], s[2:3]
	s_cbranch_execz .LBB1_8
; %bb.7:
	v_sub_u32_e32 v5, 2, v0
	v_mul_u32_u24_e32 v6, 17, v5
	v_lshl_add_u32 v8, v6, 2, v11
	v_lshl_add_u32 v9, v5, 6, v7
	ds_read2_b32 v[5:6], v8 offset1:1
	ds_read_b32 v9, v9
	ds_read_b32 v10, v8 offset:68
	s_waitcnt lgkmcnt(2)
	v_subrev_u32_e32 v6, s35, v6
	s_waitcnt lgkmcnt(1)
	v_add_u32_e32 v5, v9, v5
	s_waitcnt lgkmcnt(0)
	v_subrev_u32_e32 v9, s35, v10
	v_max3_i32 v5, v5, v9, v6
	ds_write_b32 v8, v5 offset:72
.LBB1_8:
	s_or_b64 exec, exec, s[4:5]
	v_cmp_gt_u32_e64 s[4:5], 4, v0
	s_waitcnt lgkmcnt(0)
	s_barrier
	s_and_saveexec_b64 s[6:7], s[4:5]
	s_cbranch_execz .LBB1_10
; %bb.9:
	v_sub_u32_e32 v5, 3, v0
	v_mul_u32_u24_e32 v6, 17, v5
	v_lshl_add_u32 v8, v6, 2, v11
	v_lshl_add_u32 v9, v5, 6, v7
	ds_read2_b32 v[5:6], v8 offset1:1
	ds_read_b32 v9, v9
	ds_read_b32 v10, v8 offset:68
	s_waitcnt lgkmcnt(2)
	v_subrev_u32_e32 v6, s35, v6
	s_waitcnt lgkmcnt(1)
	v_add_u32_e32 v5, v9, v5
	s_waitcnt lgkmcnt(0)
	v_subrev_u32_e32 v9, s35, v10
	v_max3_i32 v5, v5, v9, v6
	ds_write_b32 v8, v5 offset:72
.LBB1_10:
	s_or_b64 exec, exec, s[6:7]
	v_cmp_gt_u32_e64 s[6:7], 5, v0
	s_waitcnt lgkmcnt(0)
	s_barrier
	s_and_saveexec_b64 s[8:9], s[6:7]
	s_cbranch_execz .LBB1_12
; %bb.11:
	v_sub_u32_e32 v5, 4, v0
	v_mul_u32_u24_e32 v6, 17, v5
	v_lshl_add_u32 v8, v6, 2, v11
	v_lshl_add_u32 v9, v5, 6, v7
	ds_read2_b32 v[5:6], v8 offset1:1
	ds_read_b32 v9, v9
	ds_read_b32 v10, v8 offset:68
	s_waitcnt lgkmcnt(2)
	v_subrev_u32_e32 v6, s35, v6
	s_waitcnt lgkmcnt(1)
	v_add_u32_e32 v5, v9, v5
	s_waitcnt lgkmcnt(0)
	v_subrev_u32_e32 v9, s35, v10
	v_max3_i32 v5, v5, v9, v6
	ds_write_b32 v8, v5 offset:72
.LBB1_12:
	s_or_b64 exec, exec, s[8:9]
	v_cmp_gt_u32_e64 s[8:9], 6, v0
	s_waitcnt lgkmcnt(0)
	s_barrier
	s_and_saveexec_b64 s[10:11], s[8:9]
	s_cbranch_execz .LBB1_14
; %bb.13:
	v_sub_u32_e32 v5, 5, v0
	v_mul_u32_u24_e32 v6, 17, v5
	v_lshl_add_u32 v8, v6, 2, v11
	v_lshl_add_u32 v9, v5, 6, v7
	ds_read2_b32 v[5:6], v8 offset1:1
	ds_read_b32 v9, v9
	ds_read_b32 v10, v8 offset:68
	s_waitcnt lgkmcnt(2)
	v_subrev_u32_e32 v6, s35, v6
	s_waitcnt lgkmcnt(1)
	v_add_u32_e32 v5, v9, v5
	s_waitcnt lgkmcnt(0)
	v_subrev_u32_e32 v9, s35, v10
	v_max3_i32 v5, v5, v9, v6
	ds_write_b32 v8, v5 offset:72
.LBB1_14:
	s_or_b64 exec, exec, s[10:11]
	v_cmp_gt_u32_e64 s[10:11], 7, v0
	s_waitcnt lgkmcnt(0)
	s_barrier
	s_and_saveexec_b64 s[12:13], s[10:11]
	s_cbranch_execz .LBB1_16
; %bb.15:
	v_sub_u32_e32 v5, 6, v0
	v_mul_u32_u24_e32 v6, 17, v5
	v_lshl_add_u32 v8, v6, 2, v11
	v_lshl_add_u32 v9, v5, 6, v7
	ds_read2_b32 v[5:6], v8 offset1:1
	ds_read_b32 v9, v9
	ds_read_b32 v10, v8 offset:68
	s_waitcnt lgkmcnt(2)
	v_subrev_u32_e32 v6, s35, v6
	s_waitcnt lgkmcnt(1)
	v_add_u32_e32 v5, v9, v5
	s_waitcnt lgkmcnt(0)
	v_subrev_u32_e32 v9, s35, v10
	v_max3_i32 v5, v5, v9, v6
	ds_write_b32 v8, v5 offset:72
.LBB1_16:
	s_or_b64 exec, exec, s[12:13]
	v_cmp_gt_u32_e64 s[12:13], 8, v0
	s_waitcnt lgkmcnt(0)
	s_barrier
	s_and_saveexec_b64 s[14:15], s[12:13]
	s_cbranch_execz .LBB1_18
; %bb.17:
	v_sub_u32_e32 v5, 7, v0
	v_mul_u32_u24_e32 v6, 17, v5
	v_lshl_add_u32 v8, v6, 2, v11
	v_lshl_add_u32 v9, v5, 6, v7
	ds_read2_b32 v[5:6], v8 offset1:1
	ds_read_b32 v9, v9
	ds_read_b32 v10, v8 offset:68
	s_waitcnt lgkmcnt(2)
	v_subrev_u32_e32 v6, s35, v6
	s_waitcnt lgkmcnt(1)
	v_add_u32_e32 v5, v9, v5
	s_waitcnt lgkmcnt(0)
	v_subrev_u32_e32 v9, s35, v10
	v_max3_i32 v5, v5, v9, v6
	ds_write_b32 v8, v5 offset:72
.LBB1_18:
	s_or_b64 exec, exec, s[14:15]
	v_cmp_gt_u32_e64 s[14:15], 9, v0
	s_waitcnt lgkmcnt(0)
	s_barrier
	s_and_saveexec_b64 s[16:17], s[14:15]
	s_cbranch_execz .LBB1_20
; %bb.19:
	v_sub_u32_e32 v5, 8, v0
	v_mul_u32_u24_e32 v6, 17, v5
	v_lshl_add_u32 v8, v6, 2, v11
	v_lshl_add_u32 v9, v5, 6, v7
	ds_read2_b32 v[5:6], v8 offset1:1
	ds_read_b32 v9, v9
	ds_read_b32 v10, v8 offset:68
	s_waitcnt lgkmcnt(2)
	v_subrev_u32_e32 v6, s35, v6
	s_waitcnt lgkmcnt(1)
	v_add_u32_e32 v5, v9, v5
	s_waitcnt lgkmcnt(0)
	v_subrev_u32_e32 v9, s35, v10
	v_max3_i32 v5, v5, v9, v6
	ds_write_b32 v8, v5 offset:72
.LBB1_20:
	s_or_b64 exec, exec, s[16:17]
	v_cmp_gt_u32_e64 s[16:17], 10, v0
	s_waitcnt lgkmcnt(0)
	s_barrier
	s_and_saveexec_b64 s[18:19], s[16:17]
	s_cbranch_execz .LBB1_22
; %bb.21:
	v_sub_u32_e32 v5, 9, v0
	v_mul_u32_u24_e32 v6, 17, v5
	v_lshl_add_u32 v8, v6, 2, v11
	v_lshl_add_u32 v9, v5, 6, v7
	ds_read2_b32 v[5:6], v8 offset1:1
	ds_read_b32 v9, v9
	ds_read_b32 v10, v8 offset:68
	s_waitcnt lgkmcnt(2)
	v_subrev_u32_e32 v6, s35, v6
	s_waitcnt lgkmcnt(1)
	v_add_u32_e32 v5, v9, v5
	s_waitcnt lgkmcnt(0)
	v_subrev_u32_e32 v9, s35, v10
	v_max3_i32 v5, v5, v9, v6
	ds_write_b32 v8, v5 offset:72
.LBB1_22:
	s_or_b64 exec, exec, s[18:19]
	v_cmp_gt_u32_e64 s[18:19], 11, v0
	s_waitcnt lgkmcnt(0)
	s_barrier
	s_and_saveexec_b64 s[20:21], s[18:19]
	s_cbranch_execz .LBB1_24
; %bb.23:
	v_sub_u32_e32 v5, 10, v0
	v_mul_u32_u24_e32 v6, 17, v5
	v_lshl_add_u32 v8, v6, 2, v11
	v_lshl_add_u32 v9, v5, 6, v7
	ds_read2_b32 v[5:6], v8 offset1:1
	ds_read_b32 v9, v9
	ds_read_b32 v10, v8 offset:68
	s_waitcnt lgkmcnt(2)
	v_subrev_u32_e32 v6, s35, v6
	s_waitcnt lgkmcnt(1)
	v_add_u32_e32 v5, v9, v5
	s_waitcnt lgkmcnt(0)
	v_subrev_u32_e32 v9, s35, v10
	v_max3_i32 v5, v5, v9, v6
	ds_write_b32 v8, v5 offset:72
.LBB1_24:
	s_or_b64 exec, exec, s[20:21]
	v_cmp_gt_u32_e64 s[20:21], 12, v0
	s_waitcnt lgkmcnt(0)
	s_barrier
	s_and_saveexec_b64 s[22:23], s[20:21]
	s_cbranch_execz .LBB1_26
; %bb.25:
	v_sub_u32_e32 v5, 11, v0
	v_mul_u32_u24_e32 v6, 17, v5
	v_lshl_add_u32 v8, v6, 2, v11
	v_lshl_add_u32 v9, v5, 6, v7
	ds_read2_b32 v[5:6], v8 offset1:1
	ds_read_b32 v9, v9
	ds_read_b32 v10, v8 offset:68
	s_waitcnt lgkmcnt(2)
	v_subrev_u32_e32 v6, s35, v6
	s_waitcnt lgkmcnt(1)
	v_add_u32_e32 v5, v9, v5
	s_waitcnt lgkmcnt(0)
	v_subrev_u32_e32 v9, s35, v10
	v_max3_i32 v5, v5, v9, v6
	ds_write_b32 v8, v5 offset:72
.LBB1_26:
	s_or_b64 exec, exec, s[22:23]
	v_cmp_gt_u32_e64 s[22:23], 13, v0
	s_waitcnt lgkmcnt(0)
	s_barrier
	s_and_saveexec_b64 s[24:25], s[22:23]
	s_cbranch_execz .LBB1_28
; %bb.27:
	v_sub_u32_e32 v5, 12, v0
	v_mul_u32_u24_e32 v6, 17, v5
	v_lshl_add_u32 v8, v6, 2, v11
	v_lshl_add_u32 v9, v5, 6, v7
	ds_read2_b32 v[5:6], v8 offset1:1
	ds_read_b32 v9, v9
	ds_read_b32 v10, v8 offset:68
	s_waitcnt lgkmcnt(2)
	v_subrev_u32_e32 v6, s35, v6
	s_waitcnt lgkmcnt(1)
	v_add_u32_e32 v5, v9, v5
	s_waitcnt lgkmcnt(0)
	v_subrev_u32_e32 v9, s35, v10
	v_max3_i32 v5, v5, v9, v6
	ds_write_b32 v8, v5 offset:72
.LBB1_28:
	s_or_b64 exec, exec, s[24:25]
	v_cmp_gt_u32_e64 s[24:25], 14, v0
	s_waitcnt lgkmcnt(0)
	s_barrier
	s_and_saveexec_b64 s[26:27], s[24:25]
	s_cbranch_execz .LBB1_30
; %bb.29:
	v_sub_u32_e32 v5, 13, v0
	v_mul_u32_u24_e32 v6, 17, v5
	v_lshl_add_u32 v8, v6, 2, v11
	v_lshl_add_u32 v9, v5, 6, v7
	ds_read2_b32 v[5:6], v8 offset1:1
	ds_read_b32 v9, v9
	ds_read_b32 v10, v8 offset:68
	s_waitcnt lgkmcnt(2)
	v_subrev_u32_e32 v6, s35, v6
	s_waitcnt lgkmcnt(1)
	v_add_u32_e32 v5, v9, v5
	s_waitcnt lgkmcnt(0)
	v_subrev_u32_e32 v9, s35, v10
	v_max3_i32 v5, v5, v9, v6
	ds_write_b32 v8, v5 offset:72
.LBB1_30:
	s_or_b64 exec, exec, s[26:27]
	v_cmp_gt_u32_e64 s[26:27], 15, v0
	s_waitcnt lgkmcnt(0)
	s_barrier
	s_and_saveexec_b64 s[28:29], s[26:27]
	s_cbranch_execz .LBB1_32
; %bb.31:
	v_sub_u32_e32 v5, 14, v0
	v_mul_u32_u24_e32 v6, 17, v5
	v_lshl_add_u32 v8, v6, 2, v11
	v_lshl_add_u32 v9, v5, 6, v7
	ds_read2_b32 v[5:6], v8 offset1:1
	ds_read_b32 v9, v9
	ds_read_b32 v10, v8 offset:68
	s_waitcnt lgkmcnt(2)
	v_subrev_u32_e32 v6, s35, v6
	s_waitcnt lgkmcnt(1)
	v_add_u32_e32 v5, v9, v5
	s_waitcnt lgkmcnt(0)
	v_subrev_u32_e32 v9, s35, v10
	v_max3_i32 v5, v5, v9, v6
	ds_write_b32 v8, v5 offset:72
.LBB1_32:
	s_or_b64 exec, exec, s[28:29]
	v_sub_co_u32_e64 v8, s[28:29], 15, v0
	s_xor_b64 s[28:29], s[28:29], -1
	v_mul_i32_i24_e32 v5, 17, v8
	v_lshlrev_b32_e32 v6, 6, v8
	s_waitcnt lgkmcnt(0)
	s_barrier
	s_and_saveexec_b64 s[42:43], s[28:29]
	s_xor_b64 s[28:29], exec, s[42:43]
	s_cbranch_execz .LBB1_34
; %bb.33:
	v_lshlrev_b32_e32 v6, 6, v8
	v_lshl_add_u32 v9, v5, 2, v11
	v_add_u32_e32 v10, v7, v6
	ds_read2_b32 v[7:8], v9 offset1:1
	ds_read_b32 v10, v10
	ds_read_b32 v12, v9 offset:68
	s_waitcnt lgkmcnt(2)
	v_subrev_u32_e32 v8, s35, v8
	s_waitcnt lgkmcnt(1)
	v_add_u32_e32 v7, v10, v7
	s_waitcnt lgkmcnt(0)
	v_subrev_u32_e32 v10, s35, v12
	v_max3_i32 v7, v7, v10, v8
	ds_write_b32 v9, v7 offset:72
.LBB1_34:
	s_andn2_saveexec_b64 s[28:29], s[28:29]
	s_or_b64 exec, exec, s[28:29]
	v_sub_u32_e32 v0, 16, v0
	v_lshlrev_b32_e32 v5, 2, v5
	v_add_u32_e32 v6, 0x490, v6
	v_mul_i32_i24_e32 v0, 0x44, v0
	s_waitcnt lgkmcnt(0)
	s_barrier
	s_and_saveexec_b64 s[28:29], s[26:27]
	s_cbranch_execz .LBB1_36
; %bb.35:
	v_add_u32_e32 v7, v5, v11
	v_add_u32_e32 v9, v6, v11
	v_add_u32_e32 v10, v0, v11
	ds_read2_b32 v[7:8], v7 offset0:1 offset1:2
	ds_read_b32 v9, v9 offset:4
	ds_read_b32 v12, v10 offset:4
	s_waitcnt lgkmcnt(2)
	v_subrev_u32_e32 v8, s35, v8
	s_waitcnt lgkmcnt(1)
	v_add_u32_e32 v7, v9, v7
	s_waitcnt lgkmcnt(0)
	v_subrev_u32_e32 v9, s35, v12
	v_max3_i32 v7, v7, v9, v8
	ds_write_b32 v10, v7 offset:8
.LBB1_36:
	s_or_b64 exec, exec, s[28:29]
	s_waitcnt lgkmcnt(0)
	s_barrier
	s_and_saveexec_b64 s[26:27], s[24:25]
	s_cbranch_execz .LBB1_38
; %bb.37:
	v_add_u32_e32 v7, v5, v11
	v_add_u32_e32 v9, v6, v11
	v_add_u32_e32 v10, v0, v11
	ds_read2_b32 v[7:8], v7 offset0:2 offset1:3
	ds_read_b32 v9, v9 offset:8
	ds_read_b32 v12, v10 offset:8
	s_waitcnt lgkmcnt(2)
	v_subrev_u32_e32 v8, s35, v8
	s_waitcnt lgkmcnt(1)
	v_add_u32_e32 v7, v9, v7
	s_waitcnt lgkmcnt(0)
	v_subrev_u32_e32 v9, s35, v12
	v_max3_i32 v7, v7, v9, v8
	ds_write_b32 v10, v7 offset:12
.LBB1_38:
	s_or_b64 exec, exec, s[26:27]
	;; [unrolled: 21-line block ×14, first 2 shown]
	s_waitcnt lgkmcnt(0)
	s_barrier
	s_and_saveexec_b64 s[0:1], vcc
	s_cbranch_execz .LBB1_64
; %bb.63:
	ds_read2_b32 v[7:8], v5 offset0:15 offset1:16
	ds_read_b32 v5, v6 offset:60
	ds_read_b32 v6, v0 offset:60
	s_waitcnt lgkmcnt(1)
	v_add_u32_e32 v5, v5, v7
	s_waitcnt lgkmcnt(0)
	v_subrev_u32_e32 v6, s35, v6
	v_subrev_u32_e32 v7, s35, v8
	v_max3_i32 v5, v5, v6, v7
	ds_write_b32 v0, v5 offset:64
.LBB1_64:
	s_or_b64 exec, exec, s[0:1]
	v_mov_b32_e32 v0, s39
	v_add_co_u32_e32 v12, vcc, s38, v1
	v_addc_co_u32_e32 v13, vcc, v0, v2, vcc
	v_mov_b32_e32 v0, s41
	v_add_co_u32_e32 v14, vcc, s40, v1
	v_addc_co_u32_e32 v15, vcc, v0, v2, vcc
	v_mov_b32_e32 v0, s45
	v_add_co_u32_e32 v16, vcc, s44, v1
	v_addc_co_u32_e32 v17, vcc, v0, v2, vcc
	v_mov_b32_e32 v0, s47
	v_add_co_u32_e32 v18, vcc, s46, v1
	v_addc_co_u32_e32 v19, vcc, v0, v2, vcc
	v_mov_b32_e32 v0, s49
	v_add_co_u32_e32 v20, vcc, s48, v1
	v_addc_co_u32_e32 v21, vcc, v0, v2, vcc
	v_mov_b32_e32 v0, s55
	v_add_co_u32_e32 v22, vcc, s54, v1
	v_addc_co_u32_e32 v23, vcc, v0, v2, vcc
	v_mov_b32_e32 v0, s59
	v_add_co_u32_e32 v9, vcc, s58, v1
	v_addc_co_u32_e32 v10, vcc, v0, v2, vcc
	v_mov_b32_e32 v0, s63
	v_add_co_u32_e32 v7, vcc, s62, v1
	v_addc_co_u32_e32 v8, vcc, v0, v2, vcc
	v_mov_b32_e32 v0, s67
	v_add_co_u32_e32 v5, vcc, s66, v1
	v_addc_co_u32_e32 v6, vcc, v0, v2, vcc
	s_waitcnt lgkmcnt(0)
	s_barrier
	ds_read2_b32 v[24:25], v11 offset0:18 offset1:35
	v_mov_b32_e32 v0, s31
	v_add_co_u32_e32 v3, vcc, s30, v3
	v_addc_co_u32_e32 v4, vcc, v4, v0, vcc
	v_add_co_u32_e32 v26, vcc, s30, v3
	v_addc_co_u32_e32 v27, vcc, v4, v0, vcc
	v_mov_b32_e32 v0, s53
	s_waitcnt lgkmcnt(0)
	global_store_dword v[3:4], v24, off offset:4
	v_add_co_u32_e32 v3, vcc, s52, v1
	v_lshlrev_b64 v[12:13], 2, v[12:13]
	v_addc_co_u32_e32 v4, vcc, v0, v2, vcc
	v_mov_b32_e32 v24, s37
	v_add_co_u32_e32 v12, vcc, s36, v12
	v_lshlrev_b64 v[14:15], 2, v[14:15]
	v_addc_co_u32_e32 v13, vcc, v24, v13, vcc
	v_add_co_u32_e32 v14, vcc, s36, v14
	global_store_dword v[26:27], v25, off offset:4
	v_addc_co_u32_e32 v15, vcc, v24, v15, vcc
	ds_read2_b32 v[24:25], v11 offset0:52 offset1:69
	v_mov_b32_e32 v0, s51
	v_add_co_u32_e32 v26, vcc, s50, v1
	v_addc_co_u32_e32 v27, vcc, v0, v2, vcc
	v_mov_b32_e32 v0, s57
	s_waitcnt lgkmcnt(0)
	global_store_dword v[12:13], v24, off offset:4
	v_add_co_u32_e32 v12, vcc, s56, v1
	v_addc_co_u32_e32 v13, vcc, v0, v2, vcc
	v_mov_b32_e32 v0, s61
	global_store_dword v[14:15], v25, off offset:4
	v_add_co_u32_e32 v14, vcc, s60, v1
	v_addc_co_u32_e32 v15, vcc, v0, v2, vcc
	v_mov_b32_e32 v24, s65
	v_add_co_u32_e32 v0, vcc, s64, v1
	v_addc_co_u32_e32 v1, vcc, v24, v2, vcc
	ds_read2_b32 v[24:25], v11 offset0:86 offset1:103
	v_lshlrev_b64 v[16:17], 2, v[16:17]
	v_mov_b32_e32 v2, s37
	v_add_co_u32_e32 v16, vcc, s36, v16
	v_addc_co_u32_e32 v17, vcc, v2, v17, vcc
	s_waitcnt lgkmcnt(0)
	global_store_dword v[16:17], v24, off offset:4
	v_lshlrev_b64 v[16:17], 2, v[18:19]
	v_lshlrev_b64 v[18:19], 2, v[20:21]
	v_add_co_u32_e32 v16, vcc, s36, v16
	v_addc_co_u32_e32 v17, vcc, v2, v17, vcc
	global_store_dword v[16:17], v25, off offset:4
	ds_read2_b32 v[16:17], v11 offset0:120 offset1:137
	v_add_co_u32_e32 v18, vcc, s36, v18
	v_addc_co_u32_e32 v19, vcc, v2, v19, vcc
	s_waitcnt lgkmcnt(0)
	global_store_dword v[18:19], v16, off offset:4
	v_lshlrev_b64 v[18:19], 2, v[22:23]
	v_lshlrev_b64 v[9:10], 2, v[9:10]
	v_add_co_u32_e32 v18, vcc, s36, v18
	v_addc_co_u32_e32 v19, vcc, v2, v19, vcc
	global_store_dword v[18:19], v17, off offset:4
	ds_read2_b32 v[16:17], v11 offset0:154 offset1:171
	v_add_co_u32_e32 v9, vcc, s36, v9
	v_lshlrev_b64 v[7:8], 2, v[7:8]
	v_addc_co_u32_e32 v10, vcc, v2, v10, vcc
	v_add_co_u32_e32 v7, vcc, s36, v7
	v_lshlrev_b64 v[5:6], 2, v[5:6]
	v_addc_co_u32_e32 v8, vcc, v2, v8, vcc
	s_waitcnt lgkmcnt(0)
	global_store_dword v[9:10], v16, off offset:4
	global_store_dword v[7:8], v17, off offset:4
	ds_read2_b32 v[7:8], v11 offset0:188 offset1:205
	v_add_co_u32_e32 v5, vcc, s36, v5
	v_addc_co_u32_e32 v6, vcc, v2, v6, vcc
	v_lshlrev_b64 v[2:3], 2, v[3:4]
	v_mov_b32_e32 v4, s37
	v_add_co_u32_e32 v2, vcc, s36, v2
	v_addc_co_u32_e32 v3, vcc, v4, v3, vcc
	s_waitcnt lgkmcnt(0)
	global_store_dword v[5:6], v7, off offset:4
	global_store_dword v[2:3], v8, off offset:4
	ds_read2_b32 v[2:3], v11 offset0:222 offset1:239
	v_lshlrev_b64 v[4:5], 2, v[26:27]
	v_mov_b32_e32 v6, s37
	v_add_co_u32_e32 v4, vcc, s36, v4
	v_addc_co_u32_e32 v5, vcc, v6, v5, vcc
	s_waitcnt lgkmcnt(0)
	global_store_dword v[4:5], v2, off offset:4
	v_lshlrev_b64 v[4:5], 2, v[12:13]
	v_mov_b32_e32 v2, s37
	v_add_co_u32_e32 v4, vcc, s36, v4
	v_addc_co_u32_e32 v5, vcc, v2, v5, vcc
	v_add_u32_e32 v2, 0x400, v11
	global_store_dword v[4:5], v3, off offset:4
	ds_read2_b32 v[2:3], v2 offset1:17
	v_lshlrev_b64 v[4:5], 2, v[14:15]
	v_lshlrev_b64 v[0:1], 2, v[0:1]
	v_add_co_u32_e32 v4, vcc, s36, v4
	v_addc_co_u32_e32 v5, vcc, v6, v5, vcc
	s_waitcnt lgkmcnt(0)
	global_store_dword v[4:5], v2, off offset:4
	v_mov_b32_e32 v2, s37
	v_add_co_u32_e32 v0, vcc, s36, v0
	v_addc_co_u32_e32 v1, vcc, v2, v1, vcc
	global_store_dword v[0:1], v3, off offset:4
	s_endpgm
	.section	.rodata,"a",@progbits
	.p2align	6, 0x0
	.amdhsa_kernel _Z7kernel2PiPKiiiiiii
		.amdhsa_group_segment_fixed_size 2192
		.amdhsa_private_segment_fixed_size 0
		.amdhsa_kernarg_size 40
		.amdhsa_user_sgpr_count 6
		.amdhsa_user_sgpr_private_segment_buffer 1
		.amdhsa_user_sgpr_dispatch_ptr 0
		.amdhsa_user_sgpr_queue_ptr 0
		.amdhsa_user_sgpr_kernarg_segment_ptr 1
		.amdhsa_user_sgpr_dispatch_id 0
		.amdhsa_user_sgpr_flat_scratch_init 0
		.amdhsa_user_sgpr_private_segment_size 0
		.amdhsa_uses_dynamic_stack 0
		.amdhsa_system_sgpr_private_segment_wavefront_offset 0
		.amdhsa_system_sgpr_workgroup_id_x 1
		.amdhsa_system_sgpr_workgroup_id_y 0
		.amdhsa_system_sgpr_workgroup_id_z 0
		.amdhsa_system_sgpr_workgroup_info 0
		.amdhsa_system_vgpr_workitem_id 0
		.amdhsa_next_free_vgpr 29
		.amdhsa_next_free_sgpr 68
		.amdhsa_reserve_vcc 1
		.amdhsa_reserve_flat_scratch 0
		.amdhsa_float_round_mode_32 0
		.amdhsa_float_round_mode_16_64 0
		.amdhsa_float_denorm_mode_32 3
		.amdhsa_float_denorm_mode_16_64 3
		.amdhsa_dx10_clamp 1
		.amdhsa_ieee_mode 1
		.amdhsa_fp16_overflow 0
		.amdhsa_exception_fp_ieee_invalid_op 0
		.amdhsa_exception_fp_denorm_src 0
		.amdhsa_exception_fp_ieee_div_zero 0
		.amdhsa_exception_fp_ieee_overflow 0
		.amdhsa_exception_fp_ieee_underflow 0
		.amdhsa_exception_fp_ieee_inexact 0
		.amdhsa_exception_int_div_zero 0
	.end_amdhsa_kernel
	.text
.Lfunc_end1:
	.size	_Z7kernel2PiPKiiiiiii, .Lfunc_end1-_Z7kernel2PiPKiiiiiii
                                        ; -- End function
	.set _Z7kernel2PiPKiiiiiii.num_vgpr, 28
	.set _Z7kernel2PiPKiiiiiii.num_agpr, 0
	.set _Z7kernel2PiPKiiiiiii.numbered_sgpr, 68
	.set _Z7kernel2PiPKiiiiiii.num_named_barrier, 0
	.set _Z7kernel2PiPKiiiiiii.private_seg_size, 0
	.set _Z7kernel2PiPKiiiiiii.uses_vcc, 1
	.set _Z7kernel2PiPKiiiiiii.uses_flat_scratch, 0
	.set _Z7kernel2PiPKiiiiiii.has_dyn_sized_stack, 0
	.set _Z7kernel2PiPKiiiiiii.has_recursion, 0
	.set _Z7kernel2PiPKiiiiiii.has_indirect_call, 0
	.section	.AMDGPU.csdata,"",@progbits
; Kernel info:
; codeLenInByte = 4996
; TotalNumSgprs: 72
; NumVgprs: 28
; ScratchSize: 0
; MemoryBound: 0
; FloatMode: 240
; IeeeMode: 1
; LDSByteSize: 2192 bytes/workgroup (compile time only)
; SGPRBlocks: 8
; VGPRBlocks: 7
; NumSGPRsForWavesPerEU: 72
; NumVGPRsForWavesPerEU: 29
; Occupancy: 8
; WaveLimiterHint : 0
; COMPUTE_PGM_RSRC2:SCRATCH_EN: 0
; COMPUTE_PGM_RSRC2:USER_SGPR: 6
; COMPUTE_PGM_RSRC2:TRAP_HANDLER: 0
; COMPUTE_PGM_RSRC2:TGID_X_EN: 1
; COMPUTE_PGM_RSRC2:TGID_Y_EN: 0
; COMPUTE_PGM_RSRC2:TGID_Z_EN: 0
; COMPUTE_PGM_RSRC2:TIDIG_COMP_CNT: 0
	.section	.AMDGPU.gpr_maximums,"",@progbits
	.set amdgpu.max_num_vgpr, 0
	.set amdgpu.max_num_agpr, 0
	.set amdgpu.max_num_sgpr, 0
	.section	.AMDGPU.csdata,"",@progbits
	.type	__hip_cuid_b2ef5c70c394aebf,@object ; @__hip_cuid_b2ef5c70c394aebf
	.section	.bss,"aw",@nobits
	.globl	__hip_cuid_b2ef5c70c394aebf
__hip_cuid_b2ef5c70c394aebf:
	.byte	0                               ; 0x0
	.size	__hip_cuid_b2ef5c70c394aebf, 1

	.ident	"AMD clang version 22.0.0git (https://github.com/RadeonOpenCompute/llvm-project roc-7.2.4 26084 f58b06dce1f9c15707c5f808fd002e18c2accf7e)"
	.section	".note.GNU-stack","",@progbits
	.addrsig
	.addrsig_sym __hip_cuid_b2ef5c70c394aebf
	.amdgpu_metadata
---
amdhsa.kernels:
  - .args:
      - .address_space:  global
        .offset:         0
        .size:           8
        .value_kind:     global_buffer
      - .actual_access:  read_only
        .address_space:  global
        .offset:         8
        .size:           8
        .value_kind:     global_buffer
      - .offset:         16
        .size:           4
        .value_kind:     by_value
      - .offset:         20
        .size:           4
        .value_kind:     by_value
      - .offset:         24
        .size:           4
        .value_kind:     by_value
      - .offset:         28
        .size:           4
        .value_kind:     by_value
      - .offset:         32
        .size:           4
        .value_kind:     by_value
    .group_segment_fixed_size: 2192
    .kernarg_segment_align: 8
    .kernarg_segment_size: 36
    .language:       OpenCL C
    .language_version:
      - 2
      - 0
    .max_flat_workgroup_size: 1024
    .name:           _Z7kernel1PiPKiiiiii
    .private_segment_fixed_size: 0
    .sgpr_count:     70
    .sgpr_spill_count: 0
    .symbol:         _Z7kernel1PiPKiiiiii.kd
    .uniform_work_group_size: 1
    .uses_dynamic_stack: false
    .vgpr_count:     28
    .vgpr_spill_count: 0
    .wavefront_size: 64
  - .args:
      - .address_space:  global
        .offset:         0
        .size:           8
        .value_kind:     global_buffer
      - .actual_access:  read_only
        .address_space:  global
        .offset:         8
        .size:           8
        .value_kind:     global_buffer
      - .offset:         16
        .size:           4
        .value_kind:     by_value
      - .offset:         20
        .size:           4
        .value_kind:     by_value
      - .offset:         24
        .size:           4
        .value_kind:     by_value
      - .offset:         28
        .size:           4
        .value_kind:     by_value
      - .offset:         32
        .size:           4
        .value_kind:     by_value
      - .offset:         36
        .size:           4
        .value_kind:     by_value
    .group_segment_fixed_size: 2192
    .kernarg_segment_align: 8
    .kernarg_segment_size: 40
    .language:       OpenCL C
    .language_version:
      - 2
      - 0
    .max_flat_workgroup_size: 1024
    .name:           _Z7kernel2PiPKiiiiiii
    .private_segment_fixed_size: 0
    .sgpr_count:     72
    .sgpr_spill_count: 0
    .symbol:         _Z7kernel2PiPKiiiiiii.kd
    .uniform_work_group_size: 1
    .uses_dynamic_stack: false
    .vgpr_count:     28
    .vgpr_spill_count: 0
    .wavefront_size: 64
amdhsa.target:   amdgcn-amd-amdhsa--gfx906
amdhsa.version:
  - 1
  - 2
...

	.end_amdgpu_metadata
